;; amdgpu-corpus repo=triton-lang/triton kind=triton arch=gfx950 opt=O3 lang=triton
	.amdgcn_target "amdgcn-amd-amdhsa--gfx950"
	.amdhsa_code_object_version 5
	.text
	.globl	cross_entropy_kernel            ; -- Begin function cross_entropy_kernel
	.p2align	8
	.type	cross_entropy_kernel,@function
cross_entropy_kernel:                   ; @cross_entropy_kernel
.Lfunc_begin0:
	.cfi_sections .debug_frame
	.cfi_startproc
; %bb.21:
	.file	1 "/root/src/amdgpu-assembly/repos/triton-lang__triton-aot" "cross_entropy.py"
	.loc	1 7 0 prologue_end              ; cross_entropy.py:7:0
	s_load_dwordx2 s[2:3], s[0:1], 0x0
	s_load_dwordx8 s[4:11], s[0:1], 0x8
	s_load_dwordx2 s[12:13], s[0:1], 0x28
	s_waitcnt lgkmcnt(0)
	s_branch .LBB0_0
	.loc	1 0 0 is_stmt 0                 ; :0:0
.Ltmp0:
	.p2align	8
; %bb.22:
.LBB0_0:
.Ltmp1:
	.loc	1 10 24 is_stmt 1               ; cross_entropy.py:10:24
	s_mul_i32 s0, s8, s14
	.loc	1 10 18 is_stmt 0               ; cross_entropy.py:10:18
	s_ashr_i32 s1, s0, 31
	s_lshl_b64 s[0:1], s[0:1], 1
	.loc	1 20 29 is_stmt 1               ; cross_entropy.py:20:29
	v_readfirstlane_b32 s28, v0
	.loc	1 10 18                         ; cross_entropy.py:10:18
	s_add_u32 s24, s2, s0
	s_addc_u32 s0, s3, s1
	.loc	1 11 24                         ; cross_entropy.py:11:24
	v_and_b32_e32 v1, 63, v0
	s_and_b32 s1, s28, 0xc0
	v_or_b32_e32 v16, s1, v1
	v_or_b32_e32 v14, 0x100, v16
	;; [unrolled: 1-line block ×8, first 2 shown]
	.loc	1 13 21                         ; cross_entropy.py:13:21
	s_and_b32 s25, s0, 0xffff
	v_lshlrev_b32_e32 v3, 1, v16
	v_bfrev_b32_e32 v5, 1
	.loc	1 12 18                         ; cross_entropy.py:12:18
	v_cmp_gt_i32_e64 s[0:1], s9, v16
	s_mov_b32 s27, 0x27000
	s_mov_b32 s26, 0x7ffffffe
	.loc	1 13 21                         ; cross_entropy.py:13:21
	v_cndmask_b32_e64 v3, v5, v3, s[0:1]
	v_lshlrev_b32_e32 v7, 1, v14
	.loc	1 12 18                         ; cross_entropy.py:12:18
	v_cmp_gt_i32_e64 s[2:3], s9, v14
	.loc	1 13 21                         ; cross_entropy.py:13:21
	v_lshlrev_b32_e32 v9, 1, v12
	.loc	1 12 18                         ; cross_entropy.py:12:18
	v_cmp_gt_i32_e64 s[22:23], s9, v12
	.loc	1 13 21                         ; cross_entropy.py:13:21
	;; [unrolled: 4-line block ×7, first 2 shown]
	v_cndmask_b32_e64 v7, v5, v7, s[2:3]
	v_cndmask_b32_e64 v9, v5, v9, s[22:23]
	;; [unrolled: 1-line block ×7, first 2 shown]
	buffer_load_ushort v18, v3, s[24:27], 0 offen
	buffer_load_ushort v19, v7, s[24:27], 0 offen
	;; [unrolled: 1-line block ×8, first 2 shown]
	v_mov_b32_e32 v17, 0xff800000
.Ltmp2:
	.file	2 "/root/.local/lib/python3.13/site-packages/triton/language" "standard.py"
	.loc	2 191 40                        ; standard.py:191:40 @[ cross_entropy.py:14:23 ]
	s_lshr_b32 s8, s28, 4
	s_and_b32 s8, s8, 12
	v_cmp_eq_u32_e32 vcc, 0, v1
.Ltmp3:
	.loc	1 13 75                         ; cross_entropy.py:13:75
	s_waitcnt vmcnt(7)
	v_cvt_f32_f16_e32 v3, v18
	s_waitcnt vmcnt(6)
	v_cvt_f32_f16_e32 v5, v19
	;; [unrolled: 2-line block ×8, first 2 shown]
	.loc	1 13 21 is_stmt 0               ; cross_entropy.py:13:21
	v_cndmask_b32_e64 v3, v17, v3, s[0:1]
	v_cndmask_b32_e64 v5, v17, v5, s[2:3]
	;; [unrolled: 1-line block ×8, first 2 shown]
.Ltmp4:
	.loc	2 170 27 is_stmt 1              ; standard.py:170:27 @[ standard.py:191:40 @[ cross_entropy.py:14:23 ] ]
	v_max_f32_e32 v18, v3, v5
	v_max3_f32 v18, v18, v7, v9
	v_max3_f32 v18, v18, v11, v13
	;; [unrolled: 1-line block ×3, first 2 shown]
.Ltmp5:
	.loc	2 191 40                        ; standard.py:191:40 @[ cross_entropy.py:14:23 ]
	s_add_i32 s12, s8, 0
	s_nop 0
	v_mov_b32_dpp v19, v18 row_shr:8 row_mask:0xf bank_mask:0xf bound_ctrl:1
.Ltmp6:
	.loc	2 170 27                        ; standard.py:170:27 @[ standard.py:191:40 @[ cross_entropy.py:14:23 ] ]
	v_max_f32_e32 v19, v19, v19
	v_max_f32_e32 v18, v18, v19
.Ltmp7:
	.loc	2 191 40                        ; standard.py:191:40 @[ cross_entropy.py:14:23 ]
	s_nop 1
	v_mov_b32_dpp v19, v18 row_shr:4 row_mask:0xf bank_mask:0xf bound_ctrl:1
.Ltmp8:
	.loc	2 170 27                        ; standard.py:170:27 @[ standard.py:191:40 @[ cross_entropy.py:14:23 ] ]
	v_max_f32_e32 v19, v19, v19
	v_max_f32_e32 v18, v18, v19
.Ltmp9:
	.loc	2 191 40                        ; standard.py:191:40 @[ cross_entropy.py:14:23 ]
	s_nop 1
	v_mov_b32_dpp v19, v18 row_shr:2 row_mask:0xf bank_mask:0xf bound_ctrl:1
.Ltmp10:
	.loc	2 170 27                        ; standard.py:170:27 @[ standard.py:191:40 @[ cross_entropy.py:14:23 ] ]
	v_max_f32_e32 v19, v19, v19
	v_max_f32_e32 v18, v18, v19
.Ltmp11:
	.loc	2 191 40                        ; standard.py:191:40 @[ cross_entropy.py:14:23 ]
	s_nop 1
	v_mov_b32_dpp v19, v18 row_shr:1 row_mask:0xf bank_mask:0xf bound_ctrl:1
.Ltmp12:
	.loc	2 170 27                        ; standard.py:170:27 @[ standard.py:191:40 @[ cross_entropy.py:14:23 ] ]
	v_max_f32_e32 v19, v19, v19
	v_max_f32_e32 v18, v18, v19
.Ltmp13:
	.loc	2 191 40                        ; standard.py:191:40 @[ cross_entropy.py:14:23 ]
	v_mov_b32_e32 v19, v18
	s_nop 1
	v_mov_b32_dpp v19, v19 row_bcast:15 row_mask:0xa bank_mask:0xf bound_ctrl:1
.Ltmp14:
	.loc	2 170 27                        ; standard.py:170:27 @[ standard.py:191:40 @[ cross_entropy.py:14:23 ] ]
	v_max_f32_e32 v19, v19, v19
	v_max_f32_e32 v18, v18, v19
.Ltmp15:
	.loc	2 191 40                        ; standard.py:191:40 @[ cross_entropy.py:14:23 ]
	s_nop 1
	v_mov_b32_dpp v19, v18 row_bcast:31 row_mask:0xf bank_mask:0xf bound_ctrl:1
.Ltmp16:
	.loc	2 170 27                        ; standard.py:170:27 @[ standard.py:191:40 @[ cross_entropy.py:14:23 ] ]
	v_max_f32_e32 v19, v19, v19
	v_max_f32_e32 v18, v18, v19
.Ltmp17:
	.loc	2 191 40                        ; standard.py:191:40 @[ cross_entropy.py:14:23 ]
	s_nop 0
	v_readlane_b32 s2, v18, 63
	s_and_saveexec_b64 s[0:1], vcc
; %bb.1:
	v_mov_b32_e32 v18, s12
	v_mov_b32_e32 v19, s2
	ds_write_b32 v18, v19
; %bb.2:
	.loc	2 0 40 is_stmt 0                ; standard.py:0:40
	s_or_b64 exec, exec, s[0:1]
	.loc	2 191 40                        ; standard.py:191:40 @[ cross_entropy.py:14:23 ]
	v_cmp_gt_u32_e64 s[0:1], 4, v0
	v_lshl_add_u32 v18, v0, 2, 0
.Ltmp18:
	.loc	1 14 23 is_stmt 1               ; cross_entropy.py:14:23
	v_mov_b32_e32 v19, 0
.Ltmp19:
	.loc	2 191 40                        ; standard.py:191:40 @[ cross_entropy.py:14:23 ]
	s_waitcnt lgkmcnt(0)
	s_barrier
	s_and_saveexec_b64 s[2:3], s[0:1]
; %bb.3:
	ds_read_b32 v19, v18
; %bb.4:
	.loc	2 0 40 is_stmt 0                ; standard.py:0:40
	s_or_b64 exec, exec, s[2:3]
.Ltmp20:
	.loc	2 170 27 is_stmt 1              ; standard.py:170:27 @[ standard.py:191:40 @[ cross_entropy.py:14:23 ] ]
	s_waitcnt lgkmcnt(0)
	v_max_f32_e32 v20, v19, v19
.Ltmp21:
	.loc	2 191 40                        ; standard.py:191:40 @[ cross_entropy.py:14:23 ]
	v_mov_b32_dpp v19, v19 quad_perm:[2,3,0,1] row_mask:0xf bank_mask:0xf
.Ltmp22:
	.loc	2 170 27                        ; standard.py:170:27 @[ standard.py:191:40 @[ cross_entropy.py:14:23 ] ]
	v_max_f32_e32 v19, v19, v19
	v_max_f32_e32 v19, v20, v19
.Ltmp23:
	.loc	2 191 40                        ; standard.py:191:40 @[ cross_entropy.py:14:23 ]
	v_and_b32_e32 v0, 3, v0
	v_mov_b32_e32 v20, v19
	v_cmp_eq_u32_e64 s[2:3], 0, v0
	s_and_b64 s[10:11], s[0:1], s[2:3]
	v_mov_b32_dpp v20, v20 quad_perm:[1,0,3,2] row_mask:0xf bank_mask:0xf
	s_and_saveexec_b64 s[2:3], s[10:11]
; %bb.5:
	.loc	2 0 40 is_stmt 0                ; standard.py:0:40
	v_max_f32_e32 v0, v20, v20
	v_max_f32_e32 v19, v19, v19
	v_max_f32_e32 v0, v19, v0
	.loc	2 191 40                        ; standard.py:191:40 @[ cross_entropy.py:14:23 ]
	ds_write_b32 v18, v0
; %bb.6:
	.loc	2 0 40                          ; standard.py:0:40
	s_or_b64 exec, exec, s[2:3]
	.loc	2 191 40                        ; standard.py:191:40 @[ cross_entropy.py:14:23 ]
	v_mov_b32_e32 v0, 0
	s_waitcnt lgkmcnt(0)
	s_barrier
	ds_read_b32 v0, v0
	s_mov_b32 s13, 0xc2fc0000
.Ltmp24:
	.loc	2 293 36 is_stmt 1              ; standard.py:293:36 @[ cross_entropy.py:16:32 ]
	s_waitcnt lgkmcnt(0)
	s_barrier
.Ltmp25:
	.loc	1 15 23                         ; cross_entropy.py:15:23
	v_sub_f32_e32 v25, v3, v0
	v_sub_f32_e32 v24, v5, v0
	.loc	1 16 39                         ; cross_entropy.py:16:39
	v_mul_f32_e32 v3, 0x3fb8aa3b, v25
	.loc	1 15 23                         ; cross_entropy.py:15:23
	v_sub_f32_e32 v22, v9, v0
	.loc	1 16 39                         ; cross_entropy.py:16:39
	v_mov_b32_e32 v5, 0x42800000
	v_cmp_gt_f32_e64 s[2:3], s13, v3
	v_mul_f32_e32 v9, 0x3fb8aa3b, v24
	v_cmp_gt_f32_e64 s[8:9], s13, v9
	v_cndmask_b32_e64 v3, 0, v5, s[2:3]
	v_fmac_f32_e32 v3, 0x3fb8aa3b, v25
	v_cndmask_b32_e64 v9, 0, v5, s[8:9]
	v_exp_f32_e32 v3, v3
	v_fmac_f32_e32 v9, 0x3fb8aa3b, v24
	v_exp_f32_e32 v9, v9
	.loc	1 15 23                         ; cross_entropy.py:15:23
	v_sub_f32_e32 v23, v7, v0
	.loc	1 16 39                         ; cross_entropy.py:16:39
	v_not_b32_e32 v7, 63
	.loc	1 15 23                         ; cross_entropy.py:15:23
	v_sub_f32_e32 v21, v11, v0
	.loc	1 16 39                         ; cross_entropy.py:16:39
	v_cndmask_b32_e64 v11, 0, v7, s[2:3]
	v_ldexp_f32 v3, v3, v11
	v_cndmask_b32_e64 v11, 0, v7, s[8:9]
	v_ldexp_f32 v9, v9, v11
	v_mul_f32_e32 v11, 0x3fb8aa3b, v23
	.loc	1 15 23                         ; cross_entropy.py:15:23
	v_sub_f32_e32 v20, v13, v0
	.loc	1 16 39                         ; cross_entropy.py:16:39
	v_cmp_gt_f32_e64 s[2:3], s13, v11
	v_mul_f32_e32 v13, 0x3fb8aa3b, v22
	v_cmp_gt_f32_e64 s[8:9], s13, v13
	v_cndmask_b32_e64 v11, 0, v5, s[2:3]
	v_fmac_f32_e32 v11, 0x3fb8aa3b, v23
	v_cndmask_b32_e64 v13, 0, v5, s[8:9]
	v_exp_f32_e32 v11, v11
	v_fmac_f32_e32 v13, 0x3fb8aa3b, v22
	v_exp_f32_e32 v13, v13
	.loc	1 15 23                         ; cross_entropy.py:15:23
	v_sub_f32_e32 v19, v15, v0
	.loc	1 16 39                         ; cross_entropy.py:16:39
	v_cndmask_b32_e64 v15, 0, v7, s[2:3]
	v_ldexp_f32 v11, v11, v15
	v_cndmask_b32_e64 v15, 0, v7, s[8:9]
	v_ldexp_f32 v13, v13, v15
	v_mul_f32_e32 v15, 0x3fb8aa3b, v21
	.loc	1 15 23                         ; cross_entropy.py:15:23
	v_sub_f32_e32 v0, v17, v0
	.loc	1 16 39                         ; cross_entropy.py:16:39
	v_cmp_gt_f32_e64 s[2:3], s13, v15
	v_mul_f32_e32 v17, 0x3fb8aa3b, v20
	v_cmp_gt_f32_e64 s[8:9], s13, v17
	v_cndmask_b32_e64 v15, 0, v5, s[2:3]
	v_fmac_f32_e32 v15, 0x3fb8aa3b, v21
	v_cndmask_b32_e64 v17, 0, v5, s[8:9]
	v_exp_f32_e32 v15, v15
	v_fmac_f32_e32 v17, 0x3fb8aa3b, v20
	v_exp_f32_e32 v17, v17
	v_cndmask_b32_e64 v26, 0, v7, s[2:3]
	v_ldexp_f32 v15, v15, v26
	v_cndmask_b32_e64 v26, 0, v7, s[8:9]
	v_ldexp_f32 v17, v17, v26
	v_mul_f32_e32 v26, 0x3fb8aa3b, v19
	v_cmp_gt_f32_e64 s[2:3], s13, v26
	v_mul_f32_e32 v27, 0x3fb8aa3b, v0
	v_cmp_gt_f32_e64 s[8:9], s13, v27
	v_cndmask_b32_e64 v26, 0, v5, s[2:3]
	v_fmac_f32_e32 v26, 0x3fb8aa3b, v19
	v_cndmask_b32_e64 v5, 0, v5, s[8:9]
	v_exp_f32_e32 v26, v26
	v_fmac_f32_e32 v5, 0x3fb8aa3b, v0
.Ltmp26:
	.loc	2 263 15                        ; standard.py:263:15 @[ standard.py:293:36 @[ cross_entropy.py:16:32 ] ]
	v_add_f32_e32 v3, v3, v9
.Ltmp27:
	.loc	1 16 39                         ; cross_entropy.py:16:39
	v_exp_f32_e32 v5, v5
.Ltmp28:
	.loc	2 263 15                        ; standard.py:263:15 @[ standard.py:293:36 @[ cross_entropy.py:16:32 ] ]
	v_add_f32_e32 v3, v11, v3
	v_add_f32_e32 v3, v13, v3
.Ltmp29:
	.loc	1 16 39                         ; cross_entropy.py:16:39
	v_cndmask_b32_e64 v27, 0, v7, s[2:3]
.Ltmp30:
	.loc	2 263 15                        ; standard.py:263:15 @[ standard.py:293:36 @[ cross_entropy.py:16:32 ] ]
	v_add_f32_e32 v3, v15, v3
.Ltmp31:
	.loc	1 16 39                         ; cross_entropy.py:16:39
	v_ldexp_f32 v26, v26, v27
	v_cndmask_b32_e64 v7, 0, v7, s[8:9]
.Ltmp32:
	.loc	2 263 15                        ; standard.py:263:15 @[ standard.py:293:36 @[ cross_entropy.py:16:32 ] ]
	v_add_f32_e32 v3, v17, v3
.Ltmp33:
	.loc	1 16 39                         ; cross_entropy.py:16:39
	v_ldexp_f32 v5, v5, v7
.Ltmp34:
	.loc	2 263 15                        ; standard.py:263:15 @[ standard.py:293:36 @[ cross_entropy.py:16:32 ] ]
	v_add_f32_e32 v3, v26, v3
	v_add_f32_e32 v3, v5, v3
	s_nop 1
	v_add_f32_dpp v3, v3, v3 row_shr:8 row_mask:0xf bank_mask:0xf bound_ctrl:1
	s_nop 1
	v_add_f32_dpp v3, v3, v3 row_shr:4 row_mask:0xf bank_mask:0xf bound_ctrl:1
	s_nop 1
	v_add_f32_dpp v3, v3, v3 row_shr:2 row_mask:0xf bank_mask:0xf bound_ctrl:1
	s_nop 1
	v_add_f32_dpp v3, v3, v3 row_shr:1 row_mask:0xf bank_mask:0xf bound_ctrl:1
.Ltmp35:
	.loc	2 293 36                        ; standard.py:293:36 @[ cross_entropy.py:16:32 ]
	v_mov_b32_e32 v5, v3
	s_nop 1
	v_mov_b32_dpp v5, v5 row_bcast:15 row_mask:0xa bank_mask:0xf bound_ctrl:1
.Ltmp36:
	.loc	2 263 15                        ; standard.py:263:15 @[ standard.py:293:36 @[ cross_entropy.py:16:32 ] ]
	v_add_f32_e32 v3, v5, v3
	s_nop 1
	v_add_f32_dpp v3, v3, v3 row_bcast:31 row_mask:0xf bank_mask:0xf bound_ctrl:1
.Ltmp37:
	.loc	2 293 36                        ; standard.py:293:36 @[ cross_entropy.py:16:32 ]
	s_nop 0
	v_readlane_b32 s8, v3, 63
	s_and_saveexec_b64 s[2:3], vcc
; %bb.7:
	v_mov_b32_e32 v3, s12
	v_mov_b32_e32 v5, s8
	ds_write_b32 v3, v5
.Ltmp38:
; %bb.8:
	.loc	2 0 36 is_stmt 0                ; standard.py:0:36
	s_or_b64 exec, exec, s[2:3]
	.loc	1 16 32 is_stmt 1               ; cross_entropy.py:16:32
	v_mov_b32_e32 v3, 0
.Ltmp39:
	.loc	2 293 36                        ; standard.py:293:36 @[ cross_entropy.py:16:32 ]
	s_waitcnt lgkmcnt(0)
	s_barrier
	s_and_saveexec_b64 s[2:3], s[0:1]
; %bb.9:
	ds_read_b32 v3, v18
; %bb.10:
	.loc	2 0 36 is_stmt 0                ; standard.py:0:36
	s_or_b64 exec, exec, s[2:3]
	.loc	2 293 36                        ; standard.py:293:36 @[ cross_entropy.py:16:32 ]
	s_waitcnt lgkmcnt(0)
	v_mov_b32_e32 v5, v3
	s_nop 1
	v_mov_b32_dpp v5, v5 quad_perm:[2,3,0,1] row_mask:0xf bank_mask:0xf
.Ltmp40:
	.loc	2 263 15 is_stmt 1              ; standard.py:263:15 @[ standard.py:293:36 @[ cross_entropy.py:16:32 ] ]
	v_add_f32_e32 v3, v3, v5
.Ltmp41:
	.loc	2 293 36                        ; standard.py:293:36 @[ cross_entropy.py:16:32 ]
	v_mov_b32_e32 v5, v3
	s_nop 1
	v_mov_b32_dpp v5, v5 quad_perm:[1,0,3,2] row_mask:0xf bank_mask:0xf
	s_and_saveexec_b64 s[2:3], s[10:11]
; %bb.11:
	.loc	2 0 36 is_stmt 0                ; standard.py:0:36
	v_add_f32_e32 v3, v3, v5
	.loc	2 293 36                        ; standard.py:293:36 @[ cross_entropy.py:16:32 ]
	ds_write_b32 v18, v3
.Ltmp42:
; %bb.12:
	.loc	2 0 36                          ; standard.py:0:36
	s_or_b64 exec, exec, s[2:3]
	.loc	1 17 35 is_stmt 1               ; cross_entropy.py:17:35
	s_ashr_i32 s15, s14, 31
	s_lshl_b64 s[2:3], s[14:15], 3
	s_add_u32 s2, s4, s2
.Ltmp43:
	.loc	2 293 36                        ; standard.py:293:36 @[ cross_entropy.py:16:32 ]
	v_mov_b32_e32 v17, 0
.Ltmp44:
	.loc	1 17 35                         ; cross_entropy.py:17:35
	s_addc_u32 s3, s5, s3
.Ltmp45:
	.loc	2 293 36                        ; standard.py:293:36 @[ cross_entropy.py:16:32 ]
	s_waitcnt lgkmcnt(0)
	s_barrier
.Ltmp46:
	.loc	1 17 21                         ; cross_entropy.py:17:21
	global_load_dwordx2 v[28:29], v17, s[2:3]
.Ltmp47:
	.loc	2 293 36                        ; standard.py:293:36 @[ cross_entropy.py:16:32 ]
	ds_read_b32 v26, v17
.Ltmp48:
	.loc	1 18 43                         ; cross_entropy.py:18:43
	v_mov_b32_e32 v15, v17
	v_mov_b32_e32 v13, v17
	;; [unrolled: 1-line block ×7, first 2 shown]
.Ltmp49:
	.loc	2 293 36                        ; standard.py:293:36 @[ cross_entropy.py:18:26 ]
	s_waitcnt lgkmcnt(0)
	s_barrier
.Ltmp50:
	.loc	1 18 43                         ; cross_entropy.py:18:43
	s_waitcnt vmcnt(0)
	v_cmp_eq_u64_e64 s[2:3], v[28:29], v[16:17]
	.loc	1 18 60 is_stmt 0               ; cross_entropy.py:18:60
	s_nop 1
	v_cndmask_b32_e64 v16, 0, v25, s[2:3]
	.loc	1 18 43                         ; cross_entropy.py:18:43
	v_cmp_eq_u64_e64 s[2:3], v[28:29], v[14:15]
	.loc	1 18 60                         ; cross_entropy.py:18:60
	s_nop 1
	v_cndmask_b32_e64 v14, 0, v24, s[2:3]
	.loc	1 18 43                         ; cross_entropy.py:18:43
	v_cmp_eq_u64_e64 s[2:3], v[28:29], v[12:13]
	.loc	1 18 60                         ; cross_entropy.py:18:60
	;; [unrolled: 5-line block ×6, first 2 shown]
	s_nop 1
	v_cndmask_b32_e64 v4, 0, v19, s[2:3]
	.loc	1 18 43                         ; cross_entropy.py:18:43
	v_cmp_eq_u64_e64 s[2:3], v[28:29], v[2:3]
.Ltmp51:
	.loc	2 263 15 is_stmt 1              ; standard.py:263:15 @[ standard.py:293:36 @[ cross_entropy.py:18:26 ] ]
	v_add_f32_e32 v2, v16, v14
	v_add_f32_e32 v2, v12, v2
	;; [unrolled: 1-line block ×5, first 2 shown]
.Ltmp52:
	.loc	1 18 60                         ; cross_entropy.py:18:60
	v_cndmask_b32_e64 v0, 0, v0, s[2:3]
.Ltmp53:
	.loc	2 263 15                        ; standard.py:263:15 @[ standard.py:293:36 @[ cross_entropy.py:18:26 ] ]
	v_add_f32_e32 v2, v4, v2
	v_add_f32_e32 v0, v0, v2
	s_nop 1
	v_add_f32_dpp v0, v0, v0 row_shr:8 row_mask:0xf bank_mask:0xf bound_ctrl:1
	s_nop 1
	v_add_f32_dpp v0, v0, v0 row_shr:4 row_mask:0xf bank_mask:0xf bound_ctrl:1
	s_nop 1
	v_add_f32_dpp v0, v0, v0 row_shr:2 row_mask:0xf bank_mask:0xf bound_ctrl:1
	s_nop 1
	v_add_f32_dpp v0, v0, v0 row_shr:1 row_mask:0xf bank_mask:0xf bound_ctrl:1
.Ltmp54:
	.loc	2 293 36                        ; standard.py:293:36 @[ cross_entropy.py:18:26 ]
	v_mov_b32_e32 v2, v0
	s_nop 1
	v_mov_b32_dpp v2, v2 row_bcast:15 row_mask:0xa bank_mask:0xf bound_ctrl:1
.Ltmp55:
	.loc	2 263 15                        ; standard.py:263:15 @[ standard.py:293:36 @[ cross_entropy.py:18:26 ] ]
	v_add_f32_e32 v0, v2, v0
	s_nop 1
	v_add_f32_dpp v0, v0, v0 row_bcast:31 row_mask:0xf bank_mask:0xf bound_ctrl:1
.Ltmp56:
	.loc	2 293 36                        ; standard.py:293:36 @[ cross_entropy.py:18:26 ]
	s_nop 0
	v_readlane_b32 s4, v0, 63
	s_and_saveexec_b64 s[2:3], vcc
; %bb.13:
	v_mov_b32_e32 v0, s12
	v_mov_b32_e32 v2, s4
	ds_write_b32 v0, v2
.Ltmp57:
; %bb.14:
	.loc	2 0 36 is_stmt 0                ; standard.py:0:36
	s_or_b64 exec, exec, s[2:3]
	.loc	1 18 26 is_stmt 1               ; cross_entropy.py:18:26
	v_mov_b32_e32 v0, 0
.Ltmp58:
	.loc	2 293 36                        ; standard.py:293:36 @[ cross_entropy.py:18:26 ]
	s_waitcnt lgkmcnt(0)
	s_barrier
	s_and_saveexec_b64 s[2:3], s[0:1]
; %bb.15:
	ds_read_b32 v0, v18
; %bb.16:
	.loc	2 0 36 is_stmt 0                ; standard.py:0:36
	s_or_b64 exec, exec, s[2:3]
	.loc	2 293 36                        ; standard.py:293:36 @[ cross_entropy.py:18:26 ]
	s_waitcnt lgkmcnt(0)
	v_mov_b32_e32 v2, v0
.Ltmp59:
	.loc	1 0 0                           ; cross_entropy.py:0
	s_lshr_b32 s2, s28, 6
.Ltmp60:
	.loc	2 293 36                        ; standard.py:293:36 @[ cross_entropy.py:18:26 ]
	s_nop 0
	v_mov_b32_dpp v2, v2 quad_perm:[2,3,0,1] row_mask:0xf bank_mask:0xf
.Ltmp61:
	.loc	2 263 15 is_stmt 1              ; standard.py:263:15 @[ standard.py:293:36 @[ cross_entropy.py:18:26 ] ]
	v_add_f32_e32 v0, v0, v2
.Ltmp62:
	.loc	2 293 36                        ; standard.py:293:36 @[ cross_entropy.py:18:26 ]
	v_mov_b32_e32 v2, v0
	s_nop 1
	v_mov_b32_dpp v2, v2 quad_perm:[1,0,3,2] row_mask:0xf bank_mask:0xf
	s_and_saveexec_b64 s[0:1], s[10:11]
; %bb.17:
	.loc	2 0 36 is_stmt 0                ; standard.py:0:36
	v_add_f32_e32 v0, v0, v2
	.loc	2 293 36                        ; standard.py:293:36 @[ cross_entropy.py:18:26 ]
	ds_write_b32 v18, v0
.Ltmp63:
; %bb.18:
	.loc	2 0 36                          ; standard.py:0:36
	s_or_b64 exec, exec, s[0:1]
	.loc	1 20 29 is_stmt 1               ; cross_entropy.py:20:29
	v_or_b32_e32 v0, s2, v1
	v_cmp_eq_u32_e32 vcc, 0, v0
.Ltmp64:
	.loc	2 293 36                        ; standard.py:293:36 @[ cross_entropy.py:18:26 ]
	s_waitcnt lgkmcnt(0)
	s_barrier
.Ltmp65:
	.loc	1 20 29                         ; cross_entropy.py:20:29
	s_and_saveexec_b64 s[0:1], vcc
	s_cbranch_execz .LBB0_20
; %bb.19:
	.loc	1 0 29 is_stmt 0                ; cross_entropy.py:0:29
	s_mov_b32 s0, 0x800000
	.loc	1 16 25 is_stmt 1               ; cross_entropy.py:16:25
	v_cmp_gt_f32_e32 vcc, s0, v26
	s_and_b64 s[0:1], vcc, exec
	s_cselect_b32 s0, 32, 0
	v_ldexp_f32 v1, v26, s0
	v_log_f32_e32 v1, v1
	s_mov_b32 s0, 0x3f317217
	v_mov_b32_e32 v0, 0x41b17218
	v_cndmask_b32_e32 v0, 0, v0, vcc
	v_mul_f32_e32 v2, 0x3f317217, v1
	v_fma_f32 v2, v1, s0, -v2
	v_fmamk_f32 v2, v1, 0x3377d1cf, v2
	s_mov_b32 s0, 0x7f800000
	v_fmac_f32_e32 v2, 0x3f317217, v1
	v_cmp_lt_f32_e64 vcc, |v1|, s0
	s_lshl_b64 s[0:1], s[14:15], 2
	s_add_u32 s0, s6, s0
	v_cndmask_b32_e32 v1, v1, v2, vcc
	v_mov_b32_e32 v2, 0
.Ltmp66:
	.loc	2 293 36                        ; standard.py:293:36 @[ cross_entropy.py:18:26 ]
	ds_read_b32 v3, v2
.Ltmp67:
	.loc	1 16 25                         ; cross_entropy.py:16:25
	v_sub_f32_e32 v0, v1, v0
	s_addc_u32 s1, s7, s1
	.loc	1 19 25                         ; cross_entropy.py:19:25
	s_waitcnt lgkmcnt(0)
	v_sub_f32_e32 v0, v0, v3
	.loc	1 20 29                         ; cross_entropy.py:20:29
	global_store_dword v2, v0, s[0:1]
.LBB0_20:
	.loc	1 20 4 is_stmt 0                ; cross_entropy.py:20:4
	s_endpgm
.Ltmp68:
	.section	.rodata,"a",@progbits
	.p2align	6, 0x0
	.amdhsa_kernel cross_entropy_kernel
		.amdhsa_group_segment_fixed_size 0
		.amdhsa_private_segment_fixed_size 0
		.amdhsa_kernarg_size 48
		.amdhsa_user_sgpr_count 14
		.amdhsa_user_sgpr_dispatch_ptr 0
		.amdhsa_user_sgpr_queue_ptr 0
		.amdhsa_user_sgpr_kernarg_segment_ptr 1
		.amdhsa_user_sgpr_dispatch_id 0
		.amdhsa_user_sgpr_kernarg_preload_length 12
		.amdhsa_user_sgpr_kernarg_preload_offset 0
		.amdhsa_user_sgpr_private_segment_size 0
		.amdhsa_uses_dynamic_stack 0
		.amdhsa_enable_private_segment 0
		.amdhsa_system_sgpr_workgroup_id_x 1
		.amdhsa_system_sgpr_workgroup_id_y 0
		.amdhsa_system_sgpr_workgroup_id_z 0
		.amdhsa_system_sgpr_workgroup_info 0
		.amdhsa_system_vgpr_workitem_id 0
		.amdhsa_next_free_vgpr 30
		.amdhsa_next_free_sgpr 29
		.amdhsa_accum_offset 32
		.amdhsa_reserve_vcc 1
		.amdhsa_reserve_xnack_mask 1
		.amdhsa_float_round_mode_32 0
		.amdhsa_float_round_mode_16_64 0
		.amdhsa_float_denorm_mode_32 3
		.amdhsa_float_denorm_mode_16_64 3
		.amdhsa_dx10_clamp 1
		.amdhsa_ieee_mode 1
		.amdhsa_fp16_overflow 0
		.amdhsa_tg_split 0
		.amdhsa_exception_fp_ieee_invalid_op 0
		.amdhsa_exception_fp_denorm_src 0
		.amdhsa_exception_fp_ieee_div_zero 0
		.amdhsa_exception_fp_ieee_overflow 0
		.amdhsa_exception_fp_ieee_underflow 0
		.amdhsa_exception_fp_ieee_inexact 0
		.amdhsa_exception_int_div_zero 0
	.end_amdhsa_kernel
	.text
.Lfunc_end0:
	.size	cross_entropy_kernel, .Lfunc_end0-cross_entropy_kernel
	.cfi_endproc
                                        ; -- End function
	.set cross_entropy_kernel.num_vgpr, 30
	.set cross_entropy_kernel.num_agpr, 0
	.set cross_entropy_kernel.numbered_sgpr, 29
	.set cross_entropy_kernel.num_named_barrier, 0
	.set cross_entropy_kernel.private_seg_size, 0
	.set cross_entropy_kernel.uses_vcc, 1
	.set cross_entropy_kernel.uses_flat_scratch, 0
	.set cross_entropy_kernel.has_dyn_sized_stack, 0
	.set cross_entropy_kernel.has_recursion, 0
	.set cross_entropy_kernel.has_indirect_call, 0
	.section	.AMDGPU.csdata,"",@progbits
; Kernel info:
; codeLenInByte = 2448
; TotalNumSgprs: 35
; NumVgprs: 30
; NumAgprs: 0
; TotalNumVgprs: 30
; ScratchSize: 0
; MemoryBound: 0
; FloatMode: 240
; IeeeMode: 1
; LDSByteSize: 0 bytes/workgroup (compile time only)
; SGPRBlocks: 4
; VGPRBlocks: 3
; NumSGPRsForWavesPerEU: 35
; NumVGPRsForWavesPerEU: 30
; AccumOffset: 32
; Occupancy: 8
; WaveLimiterHint : 0
; COMPUTE_PGM_RSRC2:SCRATCH_EN: 0
; COMPUTE_PGM_RSRC2:USER_SGPR: 14
; COMPUTE_PGM_RSRC2:TRAP_HANDLER: 0
; COMPUTE_PGM_RSRC2:TGID_X_EN: 1
; COMPUTE_PGM_RSRC2:TGID_Y_EN: 0
; COMPUTE_PGM_RSRC2:TGID_Z_EN: 0
; COMPUTE_PGM_RSRC2:TIDIG_COMP_CNT: 0
; COMPUTE_PGM_RSRC3_GFX90A:ACCUM_OFFSET: 7
; COMPUTE_PGM_RSRC3_GFX90A:TG_SPLIT: 0
	.text
	.p2alignl 6, 3212836864
	.fill 256, 4, 3212836864
	.section	.AMDGPU.gpr_maximums,"",@progbits
	.set amdgpu.max_num_vgpr, 0
	.set amdgpu.max_num_agpr, 0
	.set amdgpu.max_num_sgpr, 0
	.set amdgpu.max_num_named_barrier, 0
	.text
	.section	.debug_abbrev,"",@progbits
	.byte	1                               ; Abbreviation Code
	.byte	17                              ; DW_TAG_compile_unit
	.byte	1                               ; DW_CHILDREN_yes
	.byte	37                              ; DW_AT_producer
	.byte	14                              ; DW_FORM_strp
	.byte	19                              ; DW_AT_language
	.byte	5                               ; DW_FORM_data2
	.byte	3                               ; DW_AT_name
	.byte	14                              ; DW_FORM_strp
	.byte	16                              ; DW_AT_stmt_list
	.byte	23                              ; DW_FORM_sec_offset
	.byte	27                              ; DW_AT_comp_dir
	.byte	14                              ; DW_FORM_strp
	.byte	17                              ; DW_AT_low_pc
	.byte	1                               ; DW_FORM_addr
	.byte	18                              ; DW_AT_high_pc
	.byte	6                               ; DW_FORM_data4
	.byte	0                               ; EOM(1)
	.byte	0                               ; EOM(2)
	.byte	2                               ; Abbreviation Code
	.byte	46                              ; DW_TAG_subprogram
	.byte	0                               ; DW_CHILDREN_no
	.byte	3                               ; DW_AT_name
	.byte	14                              ; DW_FORM_strp
	.byte	32                              ; DW_AT_inline
	.byte	11                              ; DW_FORM_data1
	.byte	0                               ; EOM(1)
	.byte	0                               ; EOM(2)
	.byte	3                               ; Abbreviation Code
	.byte	46                              ; DW_TAG_subprogram
	.byte	1                               ; DW_CHILDREN_yes
	.byte	17                              ; DW_AT_low_pc
	.byte	1                               ; DW_FORM_addr
	.byte	18                              ; DW_AT_high_pc
	.byte	6                               ; DW_FORM_data4
	.byte	49                              ; DW_AT_abstract_origin
	.byte	19                              ; DW_FORM_ref4
	.byte	0                               ; EOM(1)
	.byte	0                               ; EOM(2)
	.byte	4                               ; Abbreviation Code
	.byte	29                              ; DW_TAG_inlined_subroutine
	.byte	1                               ; DW_CHILDREN_yes
	.byte	49                              ; DW_AT_abstract_origin
	.byte	19                              ; DW_FORM_ref4
	.byte	85                              ; DW_AT_ranges
	.byte	23                              ; DW_FORM_sec_offset
	.byte	88                              ; DW_AT_call_file
	.byte	11                              ; DW_FORM_data1
	.byte	89                              ; DW_AT_call_line
	.byte	11                              ; DW_FORM_data1
	.byte	87                              ; DW_AT_call_column
	.byte	11                              ; DW_FORM_data1
	.byte	0                               ; EOM(1)
	.byte	0                               ; EOM(2)
	.byte	5                               ; Abbreviation Code
	.byte	29                              ; DW_TAG_inlined_subroutine
	.byte	0                               ; DW_CHILDREN_no
	.byte	49                              ; DW_AT_abstract_origin
	.byte	19                              ; DW_FORM_ref4
	.byte	85                              ; DW_AT_ranges
	.byte	23                              ; DW_FORM_sec_offset
	.byte	88                              ; DW_AT_call_file
	.byte	11                              ; DW_FORM_data1
	.byte	89                              ; DW_AT_call_line
	.byte	11                              ; DW_FORM_data1
	.byte	87                              ; DW_AT_call_column
	.byte	11                              ; DW_FORM_data1
	.byte	0                               ; EOM(1)
	.byte	0                               ; EOM(2)
	.byte	6                               ; Abbreviation Code
	.byte	29                              ; DW_TAG_inlined_subroutine
	.byte	0                               ; DW_CHILDREN_no
	.byte	49                              ; DW_AT_abstract_origin
	.byte	19                              ; DW_FORM_ref4
	.byte	85                              ; DW_AT_ranges
	.byte	23                              ; DW_FORM_sec_offset
	.byte	88                              ; DW_AT_call_file
	.byte	11                              ; DW_FORM_data1
	.byte	89                              ; DW_AT_call_line
	.byte	5                               ; DW_FORM_data2
	.byte	87                              ; DW_AT_call_column
	.byte	11                              ; DW_FORM_data1
	.byte	0                               ; EOM(1)
	.byte	0                               ; EOM(2)
	;; [unrolled: 1-line block ×3, first 2 shown]
	.section	.debug_info,"",@progbits
.Lcu_begin0:
	.long	.Ldebug_info_end0-.Ldebug_info_start0 ; Length of Unit
.Ldebug_info_start0:
	.short	4                               ; DWARF version number
	.long	.debug_abbrev                   ; Offset Into Abbrev. Section
	.byte	8                               ; Address Size (in bytes)
	.byte	1                               ; Abbrev [1] 0xb:0x85 DW_TAG_compile_unit
	.long	.Linfo_string0                  ; DW_AT_producer
	.short	2                               ; DW_AT_language
	.long	.Linfo_string1                  ; DW_AT_name
	.long	.Lline_table_start0             ; DW_AT_stmt_list
	.long	.Linfo_string2                  ; DW_AT_comp_dir
	.quad	.Lfunc_begin0                   ; DW_AT_low_pc
	.long	.Lfunc_end0-.Lfunc_begin0       ; DW_AT_high_pc
	.byte	2                               ; Abbrev [2] 0x2a:0x6 DW_TAG_subprogram
	.long	.Linfo_string3                  ; DW_AT_name
	.byte	1                               ; DW_AT_inline
	.byte	3                               ; Abbrev [3] 0x30:0x5f DW_TAG_subprogram
	.quad	.Lfunc_begin0                   ; DW_AT_low_pc
	.long	.Lfunc_end0-.Lfunc_begin0       ; DW_AT_high_pc
	.long	42                              ; DW_AT_abstract_origin
	.byte	4                               ; Abbrev [4] 0x41:0x19 DW_TAG_inlined_subroutine
	.long	42                              ; DW_AT_abstract_origin
	.long	.Ldebug_ranges0                 ; DW_AT_ranges
	.byte	1                               ; DW_AT_call_file
	.byte	14                              ; DW_AT_call_line
	.byte	23                              ; DW_AT_call_column
	.byte	5                               ; Abbrev [5] 0x4d:0xc DW_TAG_inlined_subroutine
	.long	42                              ; DW_AT_abstract_origin
	.long	.Ldebug_ranges1                 ; DW_AT_ranges
	.byte	2                               ; DW_AT_call_file
	.byte	191                             ; DW_AT_call_line
	.byte	40                              ; DW_AT_call_column
	.byte	0                               ; End Of Children Mark
	.byte	4                               ; Abbrev [4] 0x5a:0x1a DW_TAG_inlined_subroutine
	.long	42                              ; DW_AT_abstract_origin
	.long	.Ldebug_ranges2                 ; DW_AT_ranges
	.byte	1                               ; DW_AT_call_file
	.byte	16                              ; DW_AT_call_line
	.byte	32                              ; DW_AT_call_column
	.byte	6                               ; Abbrev [6] 0x66:0xd DW_TAG_inlined_subroutine
	.long	42                              ; DW_AT_abstract_origin
	.long	.Ldebug_ranges3                 ; DW_AT_ranges
	.byte	2                               ; DW_AT_call_file
	.short	293                             ; DW_AT_call_line
	.byte	36                              ; DW_AT_call_column
	.byte	0                               ; End Of Children Mark
	.byte	4                               ; Abbrev [4] 0x74:0x1a DW_TAG_inlined_subroutine
	.long	42                              ; DW_AT_abstract_origin
	.long	.Ldebug_ranges4                 ; DW_AT_ranges
	.byte	1                               ; DW_AT_call_file
	.byte	18                              ; DW_AT_call_line
	.byte	26                              ; DW_AT_call_column
	.byte	6                               ; Abbrev [6] 0x80:0xd DW_TAG_inlined_subroutine
	.long	42                              ; DW_AT_abstract_origin
	.long	.Ldebug_ranges5                 ; DW_AT_ranges
	.byte	2                               ; DW_AT_call_file
	.short	293                             ; DW_AT_call_line
	.byte	36                              ; DW_AT_call_column
	.byte	0                               ; End Of Children Mark
	.byte	0                               ; End Of Children Mark
	;; [unrolled: 1-line block ×3, first 2 shown]
.Ldebug_info_end0:
	.section	.debug_ranges,"",@progbits
.Ldebug_ranges0:
	.quad	.Ltmp2-.Lfunc_begin0
	.quad	.Ltmp3-.Lfunc_begin0
	;; [unrolled: 1-line block ×6, first 2 shown]
	.quad	0
	.quad	0
.Ldebug_ranges1:
	.quad	.Ltmp4-.Lfunc_begin0
	.quad	.Ltmp5-.Lfunc_begin0
	;; [unrolled: 1-line block ×18, first 2 shown]
	.quad	0
	.quad	0
.Ldebug_ranges2:
	.quad	.Ltmp24-.Lfunc_begin0
	.quad	.Ltmp25-.Lfunc_begin0
	;; [unrolled: 1-line block ×20, first 2 shown]
	.quad	0
	.quad	0
.Ldebug_ranges3:
	.quad	.Ltmp26-.Lfunc_begin0
	.quad	.Ltmp27-.Lfunc_begin0
	;; [unrolled: 1-line block ×14, first 2 shown]
	.quad	0
	.quad	0
.Ldebug_ranges4:
	.quad	.Ltmp49-.Lfunc_begin0
	.quad	.Ltmp50-.Lfunc_begin0
	;; [unrolled: 1-line block ×14, first 2 shown]
	.quad	0
	.quad	0
.Ldebug_ranges5:
	.quad	.Ltmp51-.Lfunc_begin0
	.quad	.Ltmp52-.Lfunc_begin0
	;; [unrolled: 1-line block ×8, first 2 shown]
	.quad	0
	.quad	0
	.section	.debug_str,"MS",@progbits,1
.Linfo_string0:
	.asciz	"triton"                        ; string offset=0
.Linfo_string1:
	.asciz	"cross_entropy.py"              ; string offset=7
.Linfo_string2:
	.asciz	"/root/src/amdgpu-assembly/repos/triton-lang__triton-aot" ; string offset=24
.Linfo_string3:
	.asciz	"cross_entropy_kernel"          ; string offset=80
	.section	".note.GNU-stack","",@progbits
	.amdgpu_metadata
---
amdhsa.kernels:
  - .agpr_count:     0
    .args:
      - .address_space:  global
        .offset:         0
        .size:           8
        .value_kind:     global_buffer
      - .address_space:  global
        .offset:         8
        .size:           8
        .value_kind:     global_buffer
      - .address_space:  global
        .offset:         16
        .size:           8
        .value_kind:     global_buffer
      - .offset:         24
        .size:           4
        .value_kind:     by_value
      - .offset:         28
        .size:           4
        .value_kind:     by_value
      - .address_space:  global
        .offset:         32
        .size:           8
        .value_kind:     global_buffer
      - .address_space:  global
        .offset:         40
        .size:           8
        .value_kind:     global_buffer
    .group_segment_fixed_size: 0
    .kernarg_segment_align: 8
    .kernarg_segment_size: 48
    .max_flat_workgroup_size: 256
    .name:           cross_entropy_kernel
    .private_segment_fixed_size: 0
    .sgpr_count:     35
    .sgpr_spill_count: 0
    .symbol:         cross_entropy_kernel.kd
    .uniform_work_group_size: 1
    .uses_dynamic_stack: false
    .vgpr_count:     30
    .vgpr_spill_count: 0
    .wavefront_size: 64
amdhsa.target:   amdgcn-amd-amdhsa--gfx950
amdhsa.version:
  - 1
  - 2
...

	.end_amdgpu_metadata
	.section	.debug_line,"",@progbits
.Lline_table_start0:
